;; amdgpu-corpus repo=zjin-lcf/HeCBench kind=compiled arch=gfx1250 opt=O3
	.amdgcn_target "amdgcn-amd-amdhsa--gfx1250"
	.amdhsa_code_object_version 6
	.text
	.protected	_Z14kernelGuidancePK15HIP_vector_typeIhLj3EEPS0_6Params ; -- Begin function _Z14kernelGuidancePK15HIP_vector_typeIhLj3EEPS0_6Params
	.globl	_Z14kernelGuidancePK15HIP_vector_typeIhLj3EEPS0_6Params
	.p2align	8
	.type	_Z14kernelGuidancePK15HIP_vector_typeIhLj3EEPS0_6Params,@function
_Z14kernelGuidancePK15HIP_vector_typeIhLj3EEPS0_6Params: ; @_Z14kernelGuidancePK15HIP_vector_typeIhLj3EEPS0_6Params
; %bb.0:
	s_load_b32 s8, s[0:1], 0x10
	s_bfe_u32 s2, ttmp6, 0x4000c
	s_and_b32 s3, ttmp6, 15
	s_add_co_i32 s2, s2, 1
	v_lshrrev_b32_e32 v1, 5, v0
	s_mul_i32 s4, ttmp9, s2
	s_getreg_b32 s2, hwreg(HW_REG_IB_STS2, 6, 4)
	s_add_co_i32 s3, s3, s4
	s_cmp_eq_u32 s2, 0
	s_cselect_b32 s3, ttmp9, s3
	s_delay_alu instid0(SALU_CYCLE_1) | instskip(SKIP_2) | instid1(VALU_DEP_1)
	v_lshl_add_u32 v12, s3, 2, v1
	s_mov_b32 s3, exec_lo
	s_wait_kmcnt 0x0
	v_cmpx_gt_u32_e64 s8, v12
	s_cbranch_execz .LBB0_8
; %bb.1:
	s_load_b32 s3, s[0:1], 0x14
	s_bfe_u32 s4, ttmp6, 0x40010
	s_bfe_u32 s5, ttmp6, 0x40004
	s_add_co_i32 s4, s4, 1
	s_delay_alu instid0(SALU_CYCLE_1) | instskip(NEXT) | instid1(SALU_CYCLE_1)
	s_mul_i32 s4, ttmp7, s4
	s_add_co_i32 s5, s5, s4
	s_cmp_eq_u32 s2, 0
	s_cselect_b32 s9, ttmp7, s5
	s_wait_kmcnt 0x0
	s_cmp_ge_u32 s9, s3
	s_cbranch_scc1 .LBB0_8
; %bb.2:
	s_add_nc_u64 s[2:3], s[0:1], 16
	v_cvt_f32_u32_e32 v2, v12
	s_load_b128 s[4:7], s[2:3], 0x8
	v_add_nc_u32_e32 v1, 1, v12
	s_wait_xcnt 0x0
	s_add_co_i32 s2, s9, 1
	s_cvt_f32_u32 s3, s9
	s_cvt_f32_u32 s2, s2
	s_mov_b32 s12, 0
	s_mov_b32 s11, exec_lo
	s_wait_kmcnt 0x0
	v_dual_mul_f32 v2, s6, v2 :: v_dual_bitop2_b32 v13, 31, v0 bitop3:0x40
	v_cvt_f32_u32_e32 v1, v1
	s_mul_f32 s3, s7, s3
	s_mul_f32 s2, s7, s2
	s_cvt_f32_u32 s5, s5
	s_delay_alu instid0(VALU_DEP_1) | instskip(SKIP_3) | instid1(VALU_DEP_1)
	v_dual_max_num_f32 v6, 0, v2 :: v_dual_mul_f32 v1, s6, v1
	s_cvt_f32_u32 s6, s4
	s_max_num_f32 s3, s3, 0
	s_min_num_f32 s5, s2, s5
	v_floor_f32_e32 v2, v6
	s_delay_alu instid0(SALU_CYCLE_1) | instskip(NEXT) | instid1(VALU_DEP_1)
	s_floor_f32 s2, s3
	v_cvt_u32_f32_e32 v14, v2
	v_min_num_f32_e32 v1, s6, v1
	s_ceil_f32 s6, s5
	s_cvt_u32_f32 s10, s2
	s_delay_alu instid0(VALU_DEP_1) | instskip(NEXT) | instid1(SALU_CYCLE_1)
	v_ceil_f32_e32 v3, v1
	s_cvt_u32_f32 s2, s6
	s_delay_alu instid0(VALU_DEP_1) | instskip(NEXT) | instid1(SALU_CYCLE_2)
	v_cvt_u32_f32_e32 v7, v3
	s_sub_co_i32 s2, s2, s10
	s_delay_alu instid0(VALU_DEP_1) | instskip(NEXT) | instid1(VALU_DEP_1)
	v_dual_mov_b32 v3, 0 :: v_dual_sub_nc_u32 v15, v7, v14
	v_dual_mov_b32 v2, v3 :: v_dual_mov_b32 v5, v3
	v_mov_b32_e32 v4, v3
	s_delay_alu instid0(VALU_DEP_3) | instskip(NEXT) | instid1(VALU_DEP_1)
	v_mul_lo_u32 v16, s2, v15
	v_cmpx_lt_u32_e64 v13, v16
	s_cbranch_execz .LBB0_6
; %bb.3:
	v_cvt_f32_u32_e32 v2, v15
	v_mov_b32_e32 v5, 0
	s_load_b64 s[6:7], s[0:1], 0x0
	v_dual_mov_b32 v19, v13 :: v_dual_sub_nc_u32 v18, v14, v7
	s_delay_alu instid0(VALU_DEP_3) | instskip(SKIP_1) | instid1(TRANS32_DEP_1)
	v_rcp_iflag_f32_e32 v2, v2
	v_nop
	v_dual_mul_f32 v2, 0x4f7ffffe, v2 :: v_dual_sub_nc_u32 v17, 0, v15
	s_delay_alu instid0(VALU_DEP_1) | instskip(NEXT) | instid1(VALU_DEP_1)
	v_cvt_u32_f32_e32 v3, v2
	v_mul_lo_u32 v2, v17, v3
	s_delay_alu instid0(VALU_DEP_1) | instskip(SKIP_1) | instid1(VALU_DEP_2)
	v_mul_hi_u32 v4, v3, v2
	v_and_b32_e32 v2, 31, v0
	v_dual_mov_b32 v3, v5 :: v_dual_add_nc_u32 v4, v3, v4
	s_delay_alu instid0(VALU_DEP_1) | instskip(NEXT) | instid1(VALU_DEP_2)
	v_lshlrev_b64_e32 v[10:11], 5, v[4:5]
	v_mul_u64_e32 v[8:9], v[4:5], v[2:3]
	v_dual_mov_b32 v4, v5 :: v_dual_mov_b32 v2, v5
.LBB0_4:                                ; =>This Inner Loop Header: Depth=1
	s_delay_alu instid0(VALU_DEP_2) | instskip(NEXT) | instid1(VALU_DEP_1)
	v_mad_u32 v0, v17, v9, v19
	v_dual_add_nc_u32 v7, 1, v9 :: v_dual_add_nc_u32 v20, v0, v18
	v_cmp_ge_u32_e32 vcc_lo, v0, v15
	s_delay_alu instid0(VALU_DEP_2) | instskip(SKIP_1) | instid1(VALU_DEP_2)
	v_dual_cndmask_b32 v7, v9, v7 :: v_dual_cndmask_b32 v0, v0, v20
	v_add_nc_u64_e32 v[8:9], v[8:9], v[10:11]
	v_add_nc_u32_e32 v20, 1, v7
	s_delay_alu instid0(VALU_DEP_3) | instskip(SKIP_1) | instid1(VALU_DEP_3)
	v_cmp_ge_u32_e32 vcc_lo, v0, v15
	v_dual_add_nc_u32 v21, v14, v19 :: v_dual_add_nc_u32 v19, 32, v19
	v_cndmask_b32_e32 v0, v7, v20, vcc_lo
	s_delay_alu instid0(VALU_DEP_1) | instskip(SKIP_1) | instid1(VALU_DEP_1)
	v_mad_u32 v7, v17, v0, v21
	v_add_nc_u32_e32 v0, s10, v0
	v_cvt_f32_u32_e32 v23, v0
	s_delay_alu instid0(VALU_DEP_3) | instskip(SKIP_1) | instid1(VALU_DEP_1)
	v_mad_u32 v20, v0, s4, v7
	v_cvt_f32_u32_e32 v0, v7
	v_dual_add_f32 v25, 1.0, v23 :: v_dual_add_f32 v7, 1.0, v0
	v_cmp_gt_f32_e32 vcc_lo, v6, v0
	s_wait_kmcnt 0x0
	s_delay_alu instid0(VALU_DEP_4)
	v_mad_nc_u64_u32 v[20:21], v20, 3, s[6:7]
	s_clause 0x1
	global_load_u16 v22, v[20:21], off
	global_load_u8 v24, v[20:21], off offset:2
	s_wait_xcnt 0x0
	v_subrev_f32_e32 v20, s3, v23
	v_cmp_gt_f32_e64 s2, v7, v1
	s_delay_alu instid0(VALU_DEP_2) | instskip(SKIP_1) | instid1(VALU_DEP_1)
	v_add_f32_e32 v26, 1.0, v20
	v_pk_add_f32 v[20:21], v[0:1], v[6:7] neg_lo:[0,1] neg_hi:[0,1]
	v_pk_add_f32 v[20:21], v[20:21], 1.0 op_sel_hi:[1,0]
	s_delay_alu instid0(VALU_DEP_1) | instskip(SKIP_2) | instid1(VALU_DEP_3)
	v_dual_cndmask_b32 v0, 1.0, v21, s2 :: v_dual_cndmask_b32 v7, 1.0, v20, vcc_lo
	v_sub_f32_e32 v20, s5, v25
	v_cmp_gt_f32_e32 vcc_lo, s3, v23
	v_mul_f32_e32 v0, v7, v0
	s_delay_alu instid0(VALU_DEP_3) | instskip(NEXT) | instid1(VALU_DEP_2)
	v_add_f32_e32 v7, 1.0, v20
	v_mul_f32_e32 v20, v26, v0
	s_delay_alu instid0(VALU_DEP_1) | instskip(SKIP_1) | instid1(VALU_DEP_2)
	v_cndmask_b32_e32 v0, v0, v20, vcc_lo
	v_cmp_lt_f32_e32 vcc_lo, s5, v25
	v_mul_f32_e32 v7, v7, v0
	s_delay_alu instid0(VALU_DEP_1) | instskip(SKIP_1) | instid1(VALU_DEP_2)
	v_cndmask_b32_e32 v0, v0, v7, vcc_lo
	v_cmp_ge_u32_e32 vcc_lo, v19, v16
	v_mov_b32_e32 v21, v0
	s_or_b32 s12, vcc_lo, s12
	s_wait_loadcnt 0x1
	v_cvt_f32_ubyte0_e32 v7, v22
	v_cvt_f32_ubyte1_e32 v23, v22
	s_wait_loadcnt 0x0
	v_cvt_f32_ubyte0_e32 v22, v24
	s_delay_alu instid0(VALU_DEP_3) | instskip(NEXT) | instid1(VALU_DEP_2)
	v_mul_f32_e32 v20, v0, v7
	v_pk_fma_f32 v[4:5], v[0:1], v[22:23], v[4:5] op_sel_hi:[0,1,1]
	s_delay_alu instid0(VALU_DEP_2)
	v_pk_add_f32 v[2:3], v[2:3], v[20:21]
	s_and_not1_b32 exec_lo, exec_lo, s12
	s_cbranch_execnz .LBB0_4
; %bb.5:
	s_or_b32 exec_lo, exec_lo, s12
.LBB0_6:
	s_delay_alu instid0(SALU_CYCLE_1) | instskip(SKIP_2) | instid1(VALU_DEP_1)
	s_or_b32 exec_lo, exec_lo, s11
	v_mbcnt_lo_u32_b32 v8, -1, 0
	s_load_b64 s[2:3], s[0:1], 0x8
	v_lshl_or_b32 v7, v8, 2, 64
	v_cmp_lt_u32_e32 vcc_lo, 23, v8
	ds_bpermute_b32 v1, v7, v5
	ds_bpermute_b32 v0, v7, v4
	;; [unrolled: 1-line block ×4, first 2 shown]
	v_cndmask_b32_e64 v9, 8, 0, vcc_lo
	v_cmp_lt_u32_e32 vcc_lo, 27, v8
	s_delay_alu instid0(VALU_DEP_2)
	v_add_lshl_u32 v9, v9, v8, 2
	s_wait_dscnt 0x2
	v_pk_add_f32 v[0:1], v[4:5], v[0:1]
	s_wait_dscnt 0x0
	v_pk_add_f32 v[2:3], v[2:3], v[6:7]
	ds_bpermute_b32 v5, v9, v1
	ds_bpermute_b32 v4, v9, v0
	ds_bpermute_b32 v6, v9, v2
	ds_bpermute_b32 v7, v9, v3
	v_cndmask_b32_e64 v9, 4, 0, vcc_lo
	v_cmp_lt_u32_e32 vcc_lo, 29, v8
	s_delay_alu instid0(VALU_DEP_2)
	v_add_lshl_u32 v9, v9, v8, 2
	s_wait_dscnt 0x2
	v_pk_add_f32 v[0:1], v[0:1], v[4:5]
	s_wait_dscnt 0x0
	v_pk_add_f32 v[2:3], v[2:3], v[6:7]
	ds_bpermute_b32 v5, v9, v1
	ds_bpermute_b32 v4, v9, v0
	;; [unrolled: 1-line block ×4, first 2 shown]
	v_cndmask_b32_e64 v9, 2, 0, vcc_lo
	v_cmp_ne_u32_e32 vcc_lo, 31, v8
	s_delay_alu instid0(VALU_DEP_2) | instskip(SKIP_2) | instid1(VALU_DEP_2)
	v_add_lshl_u32 v9, v9, v8, 2
	v_add_co_ci_u32_e64 v8, null, 0, v8, vcc_lo
	v_cmp_eq_u32_e32 vcc_lo, 0, v13
	v_lshlrev_b32_e32 v8, 2, v8
	s_wait_dscnt 0x2
	v_pk_add_f32 v[0:1], v[0:1], v[4:5]
	s_wait_dscnt 0x0
	v_pk_add_f32 v[2:3], v[2:3], v[6:7]
	ds_bpermute_b32 v7, v9, v1
	ds_bpermute_b32 v6, v9, v0
	ds_bpermute_b32 v4, v9, v2
	ds_bpermute_b32 v5, v9, v3
	s_wait_dscnt 0x2
	v_pk_add_f32 v[0:1], v[0:1], v[6:7]
	s_wait_dscnt 0x0
	v_pk_add_f32 v[4:5], v[2:3], v[4:5]
	ds_bpermute_b32 v3, v8, v1
	ds_bpermute_b32 v2, v8, v0
	;; [unrolled: 1-line block ×4, first 2 shown]
	s_and_b32 exec_lo, exec_lo, vcc_lo
	s_cbranch_execz .LBB0_8
; %bb.7:
	s_wait_dscnt 0x0
	v_pk_add_f32 v[4:5], v[4:5], v[6:7]
	v_pk_add_f32 v[0:1], v[0:1], v[2:3]
	v_mad_u32 v12, s8, s9, v12
	s_delay_alu instid0(VALU_DEP_3) | instskip(NEXT) | instid1(VALU_DEP_3)
	v_div_scale_f32 v2, null, v5, v5, v4
	v_div_scale_f32 v3, null, v5, v5, v1
	s_delay_alu instid0(VALU_DEP_4) | instskip(NEXT) | instid1(VALU_DEP_3)
	v_div_scale_f32 v7, null, v5, v5, v0
	v_rcp_f32_e32 v6, v2
	s_delay_alu instid0(VALU_DEP_2) | instskip(SKIP_1) | instid1(VALU_DEP_2)
	v_rcp_f32_e32 v8, v3
	v_div_scale_f32 v11, vcc_lo, v4, v5, v4
	v_rcp_f32_e32 v9, v7
	s_wait_xcnt 0x0
	v_div_scale_f32 v14, s0, v1, v5, v1
	s_delay_alu instid0(TRANS32_DEP_3) | instskip(NEXT) | instid1(TRANS32_DEP_2)
	v_fma_f32 v10, -v2, v6, 1.0
	v_fma_f32 v13, -v3, v8, 1.0
	s_delay_alu instid0(VALU_DEP_1) | instskip(NEXT) | instid1(TRANS32_DEP_1)
	v_dual_fmac_f32 v6, v10, v6 :: v_dual_fmac_f32 v8, v13, v8
	v_fma_f32 v10, -v7, v9, 1.0
	v_div_scale_f32 v13, s1, v0, v5, v0
	s_delay_alu instid0(VALU_DEP_2) | instskip(NEXT) | instid1(VALU_DEP_1)
	v_dual_mul_f32 v15, v11, v6 :: v_dual_fmac_f32 v9, v10, v9
	v_dual_mul_f32 v10, v14, v8 :: v_dual_mul_f32 v17, v13, v9
	s_delay_alu instid0(VALU_DEP_1) | instskip(NEXT) | instid1(VALU_DEP_1)
	v_dual_fma_f32 v16, -v2, v15, v11 :: v_dual_fma_f32 v18, -v3, v10, v14
	v_dual_fmac_f32 v15, v16, v6 :: v_dual_fma_f32 v16, -v7, v17, v13
	s_delay_alu instid0(VALU_DEP_1) | instskip(NEXT) | instid1(VALU_DEP_1)
	v_dual_fmac_f32 v10, v18, v8 :: v_dual_fmac_f32 v17, v16, v9
	v_dual_fma_f32 v2, -v2, v15, v11 :: v_dual_fma_f32 v3, -v3, v10, v14
	s_delay_alu instid0(VALU_DEP_1) | instskip(SKIP_1) | instid1(VALU_DEP_3)
	v_div_fmas_f32 v2, v2, v6, v15
	s_mov_b32 vcc_lo, s0
	v_fma_f32 v6, -v7, v17, v13
	s_delay_alu instid0(VALU_DEP_3) | instskip(SKIP_2) | instid1(VALU_DEP_3)
	v_div_fmas_f32 v3, v3, v8, v10
	s_mov_b32 vcc_lo, s1
	v_div_fixup_f32 v2, v2, v5, v4
	v_div_fmas_f32 v4, v6, v9, v17
	s_delay_alu instid0(VALU_DEP_3) | instskip(NEXT) | instid1(VALU_DEP_3)
	v_div_fixup_f32 v1, v3, v5, v1
	v_cvt_i32_f32_e32 v6, v2
	s_wait_kmcnt 0x0
	v_mad_nc_u64_u32 v[2:3], v12, 3, s[2:3]
	v_div_fixup_f32 v0, v4, v5, v0
	v_cvt_i32_f32_e32 v1, v1
	s_delay_alu instid0(VALU_DEP_2) | instskip(NEXT) | instid1(VALU_DEP_2)
	v_cvt_i32_f32_e32 v0, v0
	v_lshl_or_b32 v1, v1, 8, v6
	s_clause 0x1
	global_store_b8 v[2:3], v0, off offset:2
	global_store_b16 v[2:3], v1, off
.LBB0_8:
	s_endpgm
	.section	.rodata,"a",@progbits
	.p2align	6, 0x0
	.amdhsa_kernel _Z14kernelGuidancePK15HIP_vector_typeIhLj3EEPS0_6Params
		.amdhsa_group_segment_fixed_size 0
		.amdhsa_private_segment_fixed_size 0
		.amdhsa_kernarg_size 48
		.amdhsa_user_sgpr_count 2
		.amdhsa_user_sgpr_dispatch_ptr 0
		.amdhsa_user_sgpr_queue_ptr 0
		.amdhsa_user_sgpr_kernarg_segment_ptr 1
		.amdhsa_user_sgpr_dispatch_id 0
		.amdhsa_user_sgpr_kernarg_preload_length 0
		.amdhsa_user_sgpr_kernarg_preload_offset 0
		.amdhsa_user_sgpr_private_segment_size 0
		.amdhsa_wavefront_size32 1
		.amdhsa_uses_dynamic_stack 0
		.amdhsa_enable_private_segment 0
		.amdhsa_system_sgpr_workgroup_id_x 1
		.amdhsa_system_sgpr_workgroup_id_y 1
		.amdhsa_system_sgpr_workgroup_id_z 0
		.amdhsa_system_sgpr_workgroup_info 0
		.amdhsa_system_vgpr_workitem_id 0
		.amdhsa_next_free_vgpr 27
		.amdhsa_next_free_sgpr 13
		.amdhsa_named_barrier_count 0
		.amdhsa_reserve_vcc 1
		.amdhsa_float_round_mode_32 0
		.amdhsa_float_round_mode_16_64 0
		.amdhsa_float_denorm_mode_32 3
		.amdhsa_float_denorm_mode_16_64 3
		.amdhsa_fp16_overflow 0
		.amdhsa_memory_ordered 1
		.amdhsa_forward_progress 1
		.amdhsa_inst_pref_size 13
		.amdhsa_round_robin_scheduling 0
		.amdhsa_exception_fp_ieee_invalid_op 0
		.amdhsa_exception_fp_denorm_src 0
		.amdhsa_exception_fp_ieee_div_zero 0
		.amdhsa_exception_fp_ieee_overflow 0
		.amdhsa_exception_fp_ieee_underflow 0
		.amdhsa_exception_fp_ieee_inexact 0
		.amdhsa_exception_int_div_zero 0
	.end_amdhsa_kernel
	.text
.Lfunc_end0:
	.size	_Z14kernelGuidancePK15HIP_vector_typeIhLj3EEPS0_6Params, .Lfunc_end0-_Z14kernelGuidancePK15HIP_vector_typeIhLj3EEPS0_6Params
                                        ; -- End function
	.set _Z14kernelGuidancePK15HIP_vector_typeIhLj3EEPS0_6Params.num_vgpr, 27
	.set _Z14kernelGuidancePK15HIP_vector_typeIhLj3EEPS0_6Params.num_agpr, 0
	.set _Z14kernelGuidancePK15HIP_vector_typeIhLj3EEPS0_6Params.numbered_sgpr, 13
	.set _Z14kernelGuidancePK15HIP_vector_typeIhLj3EEPS0_6Params.num_named_barrier, 0
	.set _Z14kernelGuidancePK15HIP_vector_typeIhLj3EEPS0_6Params.private_seg_size, 0
	.set _Z14kernelGuidancePK15HIP_vector_typeIhLj3EEPS0_6Params.uses_vcc, 1
	.set _Z14kernelGuidancePK15HIP_vector_typeIhLj3EEPS0_6Params.uses_flat_scratch, 0
	.set _Z14kernelGuidancePK15HIP_vector_typeIhLj3EEPS0_6Params.has_dyn_sized_stack, 0
	.set _Z14kernelGuidancePK15HIP_vector_typeIhLj3EEPS0_6Params.has_recursion, 0
	.set _Z14kernelGuidancePK15HIP_vector_typeIhLj3EEPS0_6Params.has_indirect_call, 0
	.section	.AMDGPU.csdata,"",@progbits
; Kernel info:
; codeLenInByte = 1556
; TotalNumSgprs: 15
; NumVgprs: 27
; ScratchSize: 0
; MemoryBound: 0
; FloatMode: 240
; IeeeMode: 1
; LDSByteSize: 0 bytes/workgroup (compile time only)
; SGPRBlocks: 0
; VGPRBlocks: 1
; NumSGPRsForWavesPerEU: 15
; NumVGPRsForWavesPerEU: 27
; NamedBarCnt: 0
; Occupancy: 16
; WaveLimiterHint : 0
; COMPUTE_PGM_RSRC2:SCRATCH_EN: 0
; COMPUTE_PGM_RSRC2:USER_SGPR: 2
; COMPUTE_PGM_RSRC2:TRAP_HANDLER: 0
; COMPUTE_PGM_RSRC2:TGID_X_EN: 1
; COMPUTE_PGM_RSRC2:TGID_Y_EN: 1
; COMPUTE_PGM_RSRC2:TGID_Z_EN: 0
; COMPUTE_PGM_RSRC2:TIDIG_COMP_CNT: 0
	.text
	.protected	_Z18kernelDownsamplingPK15HIP_vector_typeIhLj3EES2_6ParamsPS0_ ; -- Begin function _Z18kernelDownsamplingPK15HIP_vector_typeIhLj3EES2_6ParamsPS0_
	.globl	_Z18kernelDownsamplingPK15HIP_vector_typeIhLj3EES2_6ParamsPS0_
	.p2align	8
	.type	_Z18kernelDownsamplingPK15HIP_vector_typeIhLj3EES2_6ParamsPS0_,@function
_Z18kernelDownsamplingPK15HIP_vector_typeIhLj3EES2_6ParamsPS0_: ; @_Z18kernelDownsamplingPK15HIP_vector_typeIhLj3EES2_6ParamsPS0_
; %bb.0:
	s_load_b128 s[4:7], s[0:1], 0x10
	s_bfe_u32 s2, ttmp6, 0x4000c
	s_and_b32 s3, ttmp6, 15
	s_add_co_i32 s2, s2, 1
	v_lshrrev_b32_e32 v1, 5, v0
	s_mul_i32 s8, ttmp9, s2
	s_getreg_b32 s2, hwreg(HW_REG_IB_STS2, 6, 4)
	s_add_co_i32 s3, s3, s8
	s_cmp_eq_u32 s2, 0
	s_cselect_b32 s3, ttmp9, s3
	s_delay_alu instid0(SALU_CYCLE_1) | instskip(SKIP_3) | instid1(VALU_DEP_1)
	s_lshl_b32 s16, s3, 2
	s_mov_b32 s3, exec_lo
	v_add_nc_u32_e32 v14, s16, v1
	s_wait_kmcnt 0x0
	v_cmpx_gt_u32_e64 s4, v14
	s_cbranch_execz .LBB1_38
; %bb.1:
	s_load_b96 s[8:10], s[0:1], 0x20
	s_bfe_u32 s3, ttmp6, 0x40010
	s_bfe_u32 s11, ttmp6, 0x40004
	s_add_co_i32 s3, s3, 1
	s_delay_alu instid0(SALU_CYCLE_1) | instskip(NEXT) | instid1(SALU_CYCLE_1)
	s_mul_i32 s3, ttmp7, s3
	s_add_co_i32 s11, s11, s3
	s_cmp_eq_u32 s2, 0
	s_cselect_b32 s11, ttmp7, s11
	s_delay_alu instid0(SALU_CYCLE_1)
	s_cmp_ge_u32 s11, s5
	s_cbranch_scc1 .LBB1_38
; %bb.2:
	s_load_b64 s[2:3], s[0:1], 0x8
	v_dual_sub_nc_u32 v6, 0, v1 :: v_dual_add_nc_u32 v1, 1, v14
	s_cmp_eq_u32 s11, 0
	s_delay_alu instid0(VALU_DEP_1)
	v_cmp_ne_u32_e32 vcc_lo, s16, v6
	s_cbranch_scc1 .LBB1_10
; %bb.3:
                                        ; implicit-def: $vgpr5
                                        ; implicit-def: $vgpr2
                                        ; implicit-def: $sgpr13
	s_and_saveexec_b32 s12, vcc_lo
	s_delay_alu instid0(SALU_CYCLE_1)
	s_xor_b32 s12, exec_lo, s12
	s_cbranch_execz .LBB1_5
; %bb.4:
	s_add_co_i32 s13, s11, -1
	s_delay_alu instid0(SALU_CYCLE_1) | instskip(NEXT) | instid1(SALU_CYCLE_1)
	s_mul_i32 s13, s4, s13
	v_add3_u32 v2, v14, s13, -1
	s_wait_kmcnt 0x0
	s_delay_alu instid0(VALU_DEP_1)
	v_mad_nc_u64_u32 v[2:3], v2, 3, s[2:3]
	s_clause 0x1
	global_load_u16 v4, v[2:3], off
	global_load_u8 v5, v[2:3], off offset:2
	s_wait_loadcnt 0x1
	s_wait_xcnt 0x0
	v_cvt_f32_ubyte0_e32 v2, v4
	v_cvt_f32_ubyte1_e32 v4, v4
	s_wait_loadcnt 0x0
	v_cvt_f32_ubyte0_e32 v5, v5
.LBB1_5:
	s_or_saveexec_b32 s12, s12
	v_mov_b32_e32 v3, 0x40400000
	v_mov_b32_e32 v7, s13
	s_xor_b32 exec_lo, exec_lo, s12
; %bb.6:
	v_dual_mov_b32 v2, 0 :: v_dual_mov_b32 v3, 2.0
	s_add_co_i32 s13, s11, -1
	s_delay_alu instid0(SALU_CYCLE_1)
	s_mul_i32 s13, s4, s13
	s_delay_alu instid0(VALU_DEP_1) | instid1(SALU_CYCLE_1)
	v_dual_mov_b32 v4, v2 :: v_dual_mov_b32 v7, s13
	v_mov_b32_e32 v5, v2
; %bb.7:
	s_or_b32 exec_lo, exec_lo, s12
	s_delay_alu instid0(VALU_DEP_2) | instskip(SKIP_2) | instid1(VALU_DEP_1)
	v_add_nc_u32_e32 v8, v7, v14
	s_mov_b32 s12, exec_lo
	s_wait_kmcnt 0x0
	v_mad_nc_u64_u32 v[8:9], v8, 3, s[2:3]
	s_clause 0x1
	global_load_u16 v10, v[8:9], off
	global_load_u8 v11, v[8:9], off offset:2
	s_wait_loadcnt 0x1
	v_cvt_f32_ubyte0_e32 v12, v10
	s_wait_loadcnt 0x0
	v_cvt_f32_ubyte0_e32 v9, v11
	v_cvt_f32_ubyte1_e32 v8, v10
	s_delay_alu instid0(VALU_DEP_3) | instskip(NEXT) | instid1(VALU_DEP_2)
	v_fmac_f32_e32 v2, 2.0, v12
	v_pk_fma_f32 v[4:5], v[8:9], 2.0, v[4:5] op_sel_hi:[1,0,1]
	v_cmpx_gt_u32_e64 s4, v1
	s_cbranch_execz .LBB1_9
; %bb.8:
	v_add_nc_u32_e32 v7, v7, v1
	s_delay_alu instid0(VALU_DEP_1)
	v_mad_nc_u64_u32 v[8:9], v7, 3, s[2:3]
	s_clause 0x1
	global_load_u8 v7, v[8:9], off offset:2
	global_load_u16 v12, v[8:9], off
	s_wait_xcnt 0x0
	v_mov_b32_e32 v9, 1.0
	s_wait_loadcnt 0x1
	v_cvt_f32_ubyte0_e32 v11, v7
	s_wait_loadcnt 0x0
	v_cvt_f32_ubyte1_e32 v10, v12
	v_cvt_f32_ubyte0_e32 v8, v12
	s_delay_alu instid0(VALU_DEP_2) | instskip(NEXT) | instid1(VALU_DEP_2)
	v_pk_add_f32 v[4:5], v[4:5], v[10:11]
	v_pk_add_f32 v[2:3], v[2:3], v[8:9]
.LBB1_9:
	s_or_b32 exec_lo, exec_lo, s12
	s_branch .LBB1_11
.LBB1_10:
	v_mov_b64_e32 v[4:5], 0
	v_mov_b64_e32 v[2:3], 0
.LBB1_11:
	s_clause 0x1
	s_load_b64 s[14:15], s[0:1], 0x0
	s_load_b64 s[12:13], s[0:1], 0x30
	v_cmp_ne_u32_e32 vcc_lo, s16, v6
	s_wait_xcnt 0x0
	s_mul_i32 s0, s4, s11
	s_and_saveexec_b32 s1, vcc_lo
	s_delay_alu instid0(SALU_CYCLE_1)
	s_xor_b32 s1, exec_lo, s1
	s_cbranch_execz .LBB1_13
; %bb.12:
	v_add3_u32 v6, v14, s0, -1
	s_wait_kmcnt 0x0
	s_delay_alu instid0(VALU_DEP_1)
	v_mad_nc_u64_u32 v[6:7], v6, 3, s[2:3]
	s_clause 0x1
	global_load_u16 v8, v[6:7], off
	global_load_u8 v9, v[6:7], off offset:2
	s_wait_loadcnt 0x1
	v_cvt_f32_ubyte0_e32 v10, v8
	s_wait_loadcnt 0x0
	v_cvt_f32_ubyte0_e32 v7, v9
	v_cvt_f32_ubyte1_e32 v6, v8
	s_delay_alu instid0(VALU_DEP_3) | instskip(NEXT) | instid1(VALU_DEP_2)
	v_dual_mov_b32 v9, 2.0 :: v_dual_add_f32 v8, v10, v10
	v_pk_fma_f32 v[4:5], v[6:7], 2.0, v[4:5] op_sel_hi:[1,0,1]
	s_delay_alu instid0(VALU_DEP_2)
	v_pk_add_f32 v[2:3], v[2:3], v[8:9]
.LBB1_13:
	s_or_saveexec_b32 s1, s1
	v_mov_b32_e32 v6, s0
	s_xor_b32 exec_lo, exec_lo, s1
; %bb.14:
	v_mov_b32_e32 v6, s0
; %bb.15:
	s_or_b32 exec_lo, exec_lo, s1
	s_delay_alu instid0(VALU_DEP_1) | instskip(SKIP_2) | instid1(VALU_DEP_2)
	v_add_nc_u32_e32 v7, v6, v14
	v_cmp_gt_u32_e64 s0, s4, v1
	s_wait_kmcnt 0x0
	v_mad_nc_u64_u32 v[8:9], v7, 3, s[2:3]
	s_clause 0x1
	global_load_u16 v7, v[8:9], off
	global_load_u8 v10, v[8:9], off offset:2
	s_wait_xcnt 0x0
	v_mov_b32_e32 v9, 4.0
	s_wait_loadcnt 0x1
	v_cvt_f32_ubyte0_e32 v8, v7
	s_wait_loadcnt 0x0
	v_cvt_f32_ubyte0_e32 v11, v10
	v_cvt_f32_ubyte1_e32 v10, v7
	s_delay_alu instid0(VALU_DEP_3) | instskip(NEXT) | instid1(VALU_DEP_2)
	v_mul_f32_e32 v8, 4.0, v8
	v_pk_fma_f32 v[4:5], v[10:11], 4.0, v[4:5] op_sel_hi:[1,0,1]
	s_delay_alu instid0(VALU_DEP_2)
	v_pk_add_f32 v[2:3], v[2:3], v[8:9]
	s_and_saveexec_b32 s1, s0
	s_cbranch_execz .LBB1_17
; %bb.16:
	v_add_nc_u32_e32 v6, v6, v1
	s_delay_alu instid0(VALU_DEP_1)
	v_mad_nc_u64_u32 v[6:7], v6, 3, s[2:3]
	s_clause 0x1
	global_load_u16 v8, v[6:7], off
	global_load_u8 v9, v[6:7], off offset:2
	s_wait_loadcnt 0x1
	v_cvt_f32_ubyte0_e32 v10, v8
	s_wait_loadcnt 0x0
	v_cvt_f32_ubyte0_e32 v7, v9
	v_cvt_f32_ubyte1_e32 v6, v8
	s_delay_alu instid0(VALU_DEP_3) | instskip(NEXT) | instid1(VALU_DEP_2)
	v_dual_mov_b32 v9, 2.0 :: v_dual_add_f32 v8, v10, v10
	v_pk_fma_f32 v[4:5], v[6:7], 2.0, v[4:5] op_sel_hi:[1,0,1]
	s_delay_alu instid0(VALU_DEP_2)
	v_pk_add_f32 v[2:3], v[2:3], v[8:9]
.LBB1_17:
	s_or_b32 exec_lo, exec_lo, s1
	s_add_co_i32 s1, s11, 1
	s_delay_alu instid0(SALU_CYCLE_1)
	s_cmp_ge_u32 s1, s5
	s_cbranch_scc1 .LBB1_25
; %bb.18:
	s_mul_i32 s5, s4, s1
	s_and_saveexec_b32 s16, vcc_lo
	s_delay_alu instid0(SALU_CYCLE_1)
	s_xor_b32 s16, exec_lo, s16
	s_cbranch_execz .LBB1_20
; %bb.19:
	v_add3_u32 v6, v14, s5, -1
	s_delay_alu instid0(VALU_DEP_1)
	v_mad_nc_u64_u32 v[6:7], v6, 3, s[2:3]
	s_clause 0x1
	global_load_u8 v8, v[6:7], off offset:2
	global_load_u16 v10, v[6:7], off
	s_wait_xcnt 0x0
	v_mov_b32_e32 v7, 1.0
	s_wait_loadcnt 0x1
	v_cvt_f32_ubyte0_e32 v9, v8
	s_wait_loadcnt 0x0
	v_cvt_f32_ubyte1_e32 v8, v10
	v_cvt_f32_ubyte0_e32 v6, v10
	s_delay_alu instid0(VALU_DEP_2) | instskip(NEXT) | instid1(VALU_DEP_2)
	v_pk_add_f32 v[4:5], v[4:5], v[8:9]
	v_pk_add_f32 v[2:3], v[2:3], v[6:7]
.LBB1_20:
	s_or_saveexec_b32 s16, s16
	v_mov_b32_e32 v6, s5
	s_xor_b32 exec_lo, exec_lo, s16
; %bb.21:
	v_mov_b32_e32 v6, s5
; %bb.22:
	s_or_b32 exec_lo, exec_lo, s16
	s_delay_alu instid0(VALU_DEP_1) | instskip(NEXT) | instid1(VALU_DEP_1)
	v_add_nc_u32_e32 v7, v6, v14
	v_mad_nc_u64_u32 v[8:9], v7, 3, s[2:3]
	s_clause 0x1
	global_load_u16 v7, v[8:9], off
	global_load_u8 v10, v[8:9], off offset:2
	s_wait_loadcnt 0x1
	v_cvt_f32_ubyte0_e32 v11, v7
	s_wait_loadcnt 0x0
	v_cvt_f32_ubyte0_e32 v9, v10
	v_cvt_f32_ubyte1_e32 v8, v7
	s_delay_alu instid0(VALU_DEP_3) | instskip(NEXT) | instid1(VALU_DEP_2)
	v_dual_add_f32 v10, v11, v11 :: v_dual_mov_b32 v11, 2.0
	v_pk_fma_f32 v[4:5], v[8:9], 2.0, v[4:5] op_sel_hi:[1,0,1]
	s_delay_alu instid0(VALU_DEP_2)
	v_pk_add_f32 v[2:3], v[2:3], v[10:11]
	s_and_saveexec_b32 s5, s0
	s_cbranch_execz .LBB1_24
; %bb.23:
	v_add_nc_u32_e32 v6, v6, v1
	s_delay_alu instid0(VALU_DEP_1)
	v_mad_nc_u64_u32 v[6:7], v6, 3, s[2:3]
	s_clause 0x1
	global_load_u8 v8, v[6:7], off offset:2
	global_load_u16 v10, v[6:7], off
	s_wait_xcnt 0x0
	v_mov_b32_e32 v7, 1.0
	s_wait_loadcnt 0x1
	v_cvt_f32_ubyte0_e32 v9, v8
	s_wait_loadcnt 0x0
	v_cvt_f32_ubyte1_e32 v8, v10
	v_cvt_f32_ubyte0_e32 v6, v10
	s_delay_alu instid0(VALU_DEP_2) | instskip(NEXT) | instid1(VALU_DEP_2)
	v_pk_add_f32 v[4:5], v[4:5], v[8:9]
	v_pk_add_f32 v[2:3], v[2:3], v[6:7]
.LBB1_24:
	s_or_b32 exec_lo, exec_lo, s5
.LBB1_25:
	v_cvt_f32_u32_e32 v6, v14
	v_cvt_f32_u32_e32 v1, v1
	s_cvt_f32_u32 s2, s6
	v_div_scale_f32 v7, null, v3, v3, v5
	s_delay_alu instid0(VALU_DEP_2) | instskip(SKIP_2) | instid1(VALU_DEP_2)
	v_dual_mul_f32 v6, s8, v6 :: v_dual_mul_f32 v1, s8, v1
	s_cvt_f32_u32 s0, s11
	v_div_scale_f32 v9, null, v3, v3, v4
	v_dual_max_num_f32 v17, 0, v6 :: v_dual_min_num_f32 v18, s2, v1
	v_div_scale_f32 v1, null, v3, v3, v2
	s_mul_f32 s0, s9, s0
	v_rcp_f32_e32 v11, v7
	v_floor_f32_e32 v6, v17
	v_rcp_f32_e32 v8, v1
	s_max_num_f32 s3, s0, 0
	v_rcp_f32_e32 v12, v9
	s_cvt_f32_u32 s1, s1
	v_cvt_u32_f32_e32 v19, v6
	v_fma_f32 v13, -v7, v11, 1.0
	s_floor_f32 s0, s3
	v_fma_f32 v6, -v1, v8, 1.0
	s_cvt_f32_u32 s2, s7
	v_ceil_f32_e32 v10, v18
	s_cvt_u32_f32 s7, s0
	v_fma_f32 v15, -v9, v12, 1.0
	v_dual_fmac_f32 v8, v6, v8 :: v_dual_fmac_f32 v11, v13, v11
	v_div_scale_f32 v6, vcc_lo, v2, v3, v2
	v_div_scale_f32 v13, s0, v5, v3, v5
	s_mul_f32 s1, s9, s1
	v_mul_f32_e32 v16, v6, v8
	v_cvt_u32_f32_e32 v10, v10
	v_fmac_f32_e32 v12, v15, v12
	s_min_num_f32 s5, s1, s2
	v_div_scale_f32 v15, s1, v4, v3, v4
	v_mul_f32_e32 v22, v13, v11
	v_dual_fma_f32 v21, -v1, v16, v6 :: v_dual_sub_nc_u32 v20, v10, v19
	s_ceil_f32 s2, s5
	s_mov_b32 s9, 0
	s_delay_alu instid0(VALU_DEP_2) | instskip(SKIP_3) | instid1(VALU_DEP_2)
	v_fma_f32 v24, -v7, v22, v13
	v_mul_f32_e32 v23, v15, v12
	s_cvt_u32_f32 s2, s2
	s_mov_b32 s8, exec_lo
	v_fmac_f32_e32 v22, v24, v11
	s_delay_alu instid0(VALU_DEP_2) | instskip(SKIP_2) | instid1(SALU_CYCLE_1)
	v_fma_f32 v25, -v9, v23, v15
	v_fmac_f32_e32 v16, v21, v8
	s_sub_co_i32 s2, s2, s7
	v_mul_lo_u32 v21, s2, v20
	s_delay_alu instid0(VALU_DEP_3) | instskip(NEXT) | instid1(VALU_DEP_3)
	v_fmac_f32_e32 v23, v25, v12
	v_dual_fma_f32 v1, -v1, v16, v6 :: v_dual_fma_f32 v6, -v7, v22, v13
	s_delay_alu instid0(VALU_DEP_2) | instskip(NEXT) | instid1(VALU_DEP_2)
	v_fma_f32 v7, -v9, v23, v15
	v_div_fmas_f32 v1, v1, v8, v16
	s_mov_b32 vcc_lo, s0
	s_delay_alu instid0(VALU_DEP_3) | instskip(SKIP_1) | instid1(VALU_DEP_2)
	v_div_fmas_f32 v6, v6, v11, v22
	s_mov_b32 vcc_lo, s1
	v_div_fixup_f32 v2, v1, v3, v2
	v_div_fmas_f32 v8, v7, v12, v23
	v_dual_mov_b32 v7, 0 :: v_dual_bitop2_b32 v16, 31, v0 bitop3:0x40
	v_div_fixup_f32 v15, v6, v3, v5
	s_delay_alu instid0(VALU_DEP_3) | instskip(NEXT) | instid1(VALU_DEP_3)
	v_div_fixup_f32 v3, v8, v3, v4
	v_dual_mov_b32 v6, v7 :: v_dual_mov_b32 v5, v7
	v_mov_b32_e32 v4, v7
	v_cmpx_lt_u32_e64 v16, v21
	s_cbranch_execz .LBB1_32
; %bb.26:
	v_cvt_f32_u32_e32 v1, v20
	v_dual_mov_b32 v5, 0 :: v_dual_bitop2_b32 v0, 31, v0 bitop3:0x40
	s_cmp_eq_f32 s10, 0
	s_mov_b32 s18, 0x3e76c4e1
	s_delay_alu instid0(VALU_DEP_2) | instskip(NEXT) | instid1(VALU_DEP_1)
	v_rcp_iflag_f32_e32 v1, v1
	v_mov_b32_e32 v7, v5
	s_cselect_b32 s16, -1, 0
	s_cmp_neq_f32 s10, 0
	v_dual_sub_nc_u32 v22, 0, v20 :: v_dual_sub_nc_u32 v23, v19, v10
	s_delay_alu instid0(TRANS32_DEP_1) | instskip(SKIP_3) | instid1(VALU_DEP_2)
	v_dual_mov_b32 v24, v16 :: v_dual_mul_f32 v1, 0x4f7ffffe, v1
	s_cselect_b32 s0, -1, 0
	s_cmp_neq_f32 s10, 1.0
	v_mov_b32_e32 v6, v5
	v_cvt_u32_f32_e32 v1, v1
	s_cselect_b32 s1, -1, 0
	s_delay_alu instid0(SALU_CYCLE_1) | instskip(NEXT) | instid1(VALU_DEP_1)
	s_and_b32 s17, s0, s1
	v_mul_lo_u32 v4, v22, v1
	s_delay_alu instid0(VALU_DEP_1) | instskip(NEXT) | instid1(VALU_DEP_1)
	v_mul_hi_u32 v4, v1, v4
	v_add_nc_u32_e32 v4, v1, v4
	v_mov_b32_e32 v1, v5
	s_delay_alu instid0(VALU_DEP_2) | instskip(NEXT) | instid1(VALU_DEP_2)
	v_lshlrev_b64_e32 v[8:9], 5, v[4:5]
	v_mul_u64_e32 v[0:1], v[4:5], v[0:1]
	v_mov_b32_e32 v4, v5
	s_branch .LBB1_29
.LBB1_27:                               ;   in Loop: Header=BB1_29 Depth=1
	s_delay_alu instid0(VALU_DEP_1) | instskip(SKIP_1) | instid1(VALU_DEP_2)
	v_frexp_mant_f32_e64 v27, |v26|
	v_cmp_lt_f32_e64 s19, |v26|, 1.0
	v_cmp_gt_f32_e32 vcc_lo, 0x3f2aaaab, v27
	v_cndmask_b32_e64 v28, 1.0, 2.0, vcc_lo
	s_delay_alu instid0(VALU_DEP_1) | instskip(NEXT) | instid1(VALU_DEP_1)
	v_mul_f32_e32 v27, v27, v28
	v_dual_add_f32 v28, 1.0, v27 :: v_dual_add_f32 v29, -1.0, v27
	s_delay_alu instid0(VALU_DEP_1) | instskip(SKIP_1) | instid1(TRANS32_DEP_1)
	v_rcp_f32_e32 v34, v28
	v_nop
	v_dual_mul_f32 v35, v29, v34 :: v_dual_add_f32 v31, -1.0, v28
	s_delay_alu instid0(VALU_DEP_1) | instskip(NEXT) | instid1(VALU_DEP_2)
	v_mul_f32_e32 v30, v28, v35
	v_sub_f32_e32 v27, v27, v31
	s_delay_alu instid0(VALU_DEP_2) | instskip(NEXT) | instid1(VALU_DEP_1)
	v_fma_f32 v32, v35, v28, -v30
	v_fmac_f32_e32 v32, v35, v27
	s_delay_alu instid0(VALU_DEP_1) | instskip(NEXT) | instid1(VALU_DEP_1)
	v_add_f32_e32 v28, v30, v32
	v_dual_sub_f32 v31, v29, v28 :: v_dual_mov_b32 v33, v28
	s_delay_alu instid0(VALU_DEP_1) | instskip(NEXT) | instid1(VALU_DEP_1)
	v_pk_add_f32 v[28:29], v[28:29], v[30:31] neg_lo:[0,1] neg_hi:[0,1]
	v_pk_add_f32 v[28:29], v[28:29], v[32:33] neg_lo:[0,1] neg_hi:[0,1]
	s_delay_alu instid0(VALU_DEP_1) | instskip(NEXT) | instid1(VALU_DEP_1)
	v_add_f32_e32 v27, v28, v29
	v_add_f32_e32 v27, v31, v27
	s_delay_alu instid0(VALU_DEP_1) | instskip(NEXT) | instid1(VALU_DEP_1)
	v_mul_f32_e32 v27, v34, v27
	v_add_f32_e32 v28, v35, v27
	s_delay_alu instid0(VALU_DEP_1) | instskip(NEXT) | instid1(VALU_DEP_1)
	v_dual_sub_f32 v29, v28, v35 :: v_dual_mul_f32 v31, v28, v28
	v_dual_sub_f32 v27, v27, v29 :: v_dual_fma_f32 v29, v28, v28, -v31
	s_delay_alu instid0(VALU_DEP_1) | instskip(NEXT) | instid1(VALU_DEP_1)
	v_add_f32_e32 v30, v27, v27
	v_fmac_f32_e32 v29, v28, v30
	s_delay_alu instid0(VALU_DEP_1) | instskip(NEXT) | instid1(VALU_DEP_1)
	v_add_f32_e32 v30, v31, v29
	v_sub_f32_e32 v31, v30, v31
	s_delay_alu instid0(VALU_DEP_1) | instskip(SKIP_1) | instid1(VALU_DEP_1)
	v_sub_f32_e32 v38, v29, v31
	v_fmaak_f32 v32, s18, v30, 0x3e91f4c4
	v_fmaak_f32 v34, v30, v32, 0x3ecccdef
	v_cvt_f64_f32_e64 v[32:33], |v26|
	s_delay_alu instid0(VALU_DEP_2) | instskip(NEXT) | instid1(VALU_DEP_1)
	v_mul_f32_e32 v35, v30, v34
	v_fma_f32 v29, v30, v34, -v35
	s_delay_alu instid0(VALU_DEP_1) | instskip(NEXT) | instid1(VALU_DEP_1)
	v_fmac_f32_e32 v29, v38, v34
	v_add_f32_e32 v31, v35, v29
	s_delay_alu instid0(VALU_DEP_1) | instskip(SKIP_1) | instid1(VALU_DEP_1)
	v_sub_f32_e32 v34, v31, v35
	v_add_f32_e32 v35, 0x3f2aaaaa, v31
	v_dual_sub_f32 v29, v29, v34 :: v_dual_add_f32 v34, 0xbf2aaaaa, v35
	v_frexp_exp_i32_f64_e32 v39, v[32:33]
	s_delay_alu instid0(VALU_DEP_2) | instskip(NEXT) | instid1(VALU_DEP_3)
	v_add_f32_e32 v29, 0x31739010, v29
	v_sub_f32_e32 v31, v31, v34
	s_delay_alu instid0(VALU_DEP_1) | instskip(NEXT) | instid1(VALU_DEP_1)
	v_pk_mul_f32 v[32:33], v[28:29], v[30:31]
	v_fma_f32 v34, v30, v28, -v32
	v_pk_add_f32 v[36:37], v[28:29], v[30:31]
	s_delay_alu instid0(VALU_DEP_1) | instskip(SKIP_1) | instid1(VALU_DEP_2)
	v_dual_fmac_f32 v34, v30, v27 :: v_dual_mov_b32 v33, v37
	v_ldexp_f32 v27, v27, 1
	v_fmac_f32_e32 v34, v38, v28
	s_delay_alu instid0(VALU_DEP_1) | instskip(SKIP_1) | instid1(VALU_DEP_2)
	v_pk_add_f32 v[30:31], v[32:33], v[34:35]
	v_subrev_co_ci_u32_e64 v29, null, 0, v39, vcc_lo
	v_mov_b32_e32 v36, v31
	s_delay_alu instid0(VALU_DEP_3) | instskip(NEXT) | instid1(VALU_DEP_3)
	v_dual_sub_f32 v33, v35, v31 :: v_dual_sub_f32 v35, v30, v32
	v_cvt_f32_i32_e32 v29, v29
	v_cmp_neq_f32_e32 vcc_lo, 1.0, v26
	s_delay_alu instid0(VALU_DEP_4) | instskip(NEXT) | instid1(VALU_DEP_4)
	v_pk_mul_f32 v[38:39], v[30:31], v[36:37]
	v_dual_add_f32 v33, v37, v33 :: v_dual_sub_f32 v34, v34, v35
	s_delay_alu instid0(VALU_DEP_2) | instskip(NEXT) | instid1(VALU_DEP_1)
	v_fma_f32 v32, v30, v31, -v38
	v_fmac_f32_e32 v32, v30, v33
	s_delay_alu instid0(VALU_DEP_1) | instskip(SKIP_2) | instid1(VALU_DEP_3)
	v_fmac_f32_e32 v32, v34, v31
	v_mul_f32_e32 v36, 0x3f317218, v29
	v_ldexp_f32 v31, v28, 1
	v_add_f32_e32 v37, v38, v32
	s_delay_alu instid0(VALU_DEP_3) | instskip(NEXT) | instid1(VALU_DEP_2)
	v_fma_f32 v30, 0x3f317218, v29, -v36
	v_dual_mov_b32 v39, v31 :: v_dual_mov_b32 v33, v37
	s_delay_alu instid0(VALU_DEP_2) | instskip(SKIP_1) | instid1(VALU_DEP_2)
	v_fmac_f32_e32 v30, 0xb102e308, v29
	v_mov_b32_e32 v34, v37
	v_pk_add_f32 v[28:29], v[36:37], v[30:31]
	s_delay_alu instid0(VALU_DEP_1) | instskip(SKIP_1) | instid1(VALU_DEP_2)
	v_dual_mov_b32 v35, v29 :: v_dual_mov_b32 v31, v28
	v_mov_b32_e32 v42, v29
	v_pk_add_f32 v[34:35], v[34:35], v[38:39] neg_lo:[0,1] neg_hi:[0,1]
	s_delay_alu instid0(VALU_DEP_1) | instskip(NEXT) | instid1(VALU_DEP_1)
	v_pk_add_f32 v[32:33], v[32:33], v[34:35] neg_lo:[0,1] neg_hi:[0,1]
	v_add_f32_e32 v27, v27, v32
	s_delay_alu instid0(VALU_DEP_1) | instskip(NEXT) | instid1(VALU_DEP_1)
	v_add_f32_e32 v37, v27, v33
	v_pk_add_f32 v[32:33], v[28:29], v[36:37]
	v_pk_add_f32 v[34:35], v[28:29], v[36:37] neg_lo:[0,1] neg_hi:[0,1]
	s_delay_alu instid0(VALU_DEP_2) | instskip(NEXT) | instid1(VALU_DEP_1)
	v_mov_b32_e32 v35, v33
	v_pk_add_f32 v[38:39], v[30:31], v[34:35]
	v_pk_add_f32 v[30:31], v[30:31], v[34:35] neg_lo:[0,1] neg_hi:[0,1]
	s_delay_alu instid0(VALU_DEP_2) | instskip(NEXT) | instid1(VALU_DEP_1)
	v_dual_mov_b32 v36, v39 :: v_dual_mov_b32 v31, v39
	v_pk_add_f32 v[40:41], v[36:37], v[28:29] neg_lo:[0,1] neg_hi:[0,1]
	v_dual_mov_b32 v38, v33 :: v_dual_mov_b32 v29, v28
	s_delay_alu instid0(VALU_DEP_2) | instskip(SKIP_1) | instid1(VALU_DEP_2)
	v_dual_mov_b32 v28, v37 :: v_dual_mov_b32 v43, v40
	v_mov_b32_e32 v27, v40
	v_pk_add_f32 v[34:35], v[38:39], v[42:43] neg_lo:[0,1] neg_hi:[0,1]
	s_delay_alu instid0(VALU_DEP_2) | instskip(SKIP_1) | instid1(VALU_DEP_3)
	v_pk_add_f32 v[32:33], v[32:33], v[26:27] neg_lo:[0,1] neg_hi:[0,1]
	v_mov_b32_e32 v32, v30
	v_pk_add_f32 v[28:29], v[28:29], v[34:35] neg_lo:[0,1] neg_hi:[0,1]
	s_delay_alu instid0(VALU_DEP_1) | instskip(NEXT) | instid1(VALU_DEP_1)
	v_pk_add_f32 v[32:33], v[32:33], v[28:29]
	v_mov_b32_e32 v34, v33
	s_delay_alu instid0(VALU_DEP_1) | instskip(NEXT) | instid1(VALU_DEP_1)
	v_pk_add_f32 v[34:35], v[32:33], v[34:35]
	v_pk_add_f32 v[36:37], v[36:37], v[34:35]
	s_delay_alu instid0(VALU_DEP_1) | instskip(NEXT) | instid1(VALU_DEP_1)
	v_dual_mov_b32 v29, v34 :: v_dual_mov_b32 v33, v36
	v_pk_add_f32 v[38:39], v[32:33], v[30:31] neg_lo:[0,1] neg_hi:[0,1]
	s_delay_alu instid0(VALU_DEP_1) | instskip(NEXT) | instid1(VALU_DEP_2)
	v_sub_f32_e32 v27, v32, v38
	v_pk_add_f32 v[28:29], v[28:29], v[38:39] neg_lo:[0,1] neg_hi:[0,1]
	s_delay_alu instid0(VALU_DEP_2) | instskip(NEXT) | instid1(VALU_DEP_1)
	v_sub_f32_e32 v27, v30, v27
	v_add_f32_e32 v27, v28, v27
	s_delay_alu instid0(VALU_DEP_1) | instskip(SKIP_1) | instid1(VALU_DEP_2)
	v_add_f32_e32 v27, v27, v29
	v_cndmask_b32_e64 v29, 1.0, s10, vcc_lo
	v_add_f32_e32 v28, v36, v27
	s_delay_alu instid0(VALU_DEP_2) | instskip(SKIP_1) | instid1(VALU_DEP_3)
	v_cmp_neq_f32_e64 s20, v29, |v29|
	v_cmp_gt_f32_e64 s2, 0, v29
	v_sub_f32_e32 v30, v28, v36
	s_xor_b32 s19, s19, s20
	s_delay_alu instid0(VALU_DEP_1) | instskip(NEXT) | instid1(VALU_DEP_1)
	v_dual_sub_f32 v27, v27, v30 :: v_dual_mul_f32 v31, v29, v28
	v_fma_f32 v28, v29, v28, -v31
	v_cmp_class_f32_e64 vcc_lo, v31, 0x204
	s_delay_alu instid0(VALU_DEP_2) | instskip(NEXT) | instid1(VALU_DEP_1)
	v_fmac_f32_e32 v28, v29, v27
	v_add_f32_e32 v27, v31, v28
	s_delay_alu instid0(VALU_DEP_1) | instskip(NEXT) | instid1(VALU_DEP_1)
	v_cndmask_b32_e32 v30, v27, v31, vcc_lo
	v_cmp_eq_f32_e32 vcc_lo, 0x42b17218, v30
	v_cndmask_b32_e64 v32, 0, 0x37000000, vcc_lo
	v_cmp_eq_f32_e32 vcc_lo, 0, v26
	s_delay_alu instid0(VALU_DEP_2) | instskip(NEXT) | instid1(VALU_DEP_1)
	v_sub_f32_e32 v33, v30, v32
	v_dual_mul_f32 v34, 0x3fb8aa3b, v33 :: v_dual_sub_f32 v27, v27, v31
	s_delay_alu instid0(VALU_DEP_1) | instskip(SKIP_1) | instid1(VALU_DEP_1)
	v_fma_f32 v35, 0x3fb8aa3b, v33, -v34
	v_rndne_f32_e32 v36, v34
	v_dual_fmac_f32 v35, 0x32a5705f, v33 :: v_dual_sub_f32 v34, v34, v36
	s_delay_alu instid0(VALU_DEP_4) | instskip(SKIP_2) | instid1(VALU_DEP_4)
	v_sub_f32_e32 v27, v28, v27
	v_cmp_neq_f32_e64 s0, 0x7f800000, |v30|
	v_trunc_f32_e32 v30, v29
	v_add_f32_e32 v34, v34, v35
	s_delay_alu instid0(VALU_DEP_3) | instskip(SKIP_1) | instid1(VALU_DEP_3)
	v_cndmask_b32_e64 v27, 0, v27, s0
	v_cmp_ngt_f32_e64 s0, 0xc2ce8ed0, v33
	v_exp_f32_e32 v31, v34
	v_nop
	v_cvt_i32_f32_e32 v34, v36
	s_delay_alu instid0(TRANS32_DEP_1) | instid1(VALU_DEP_1)
	v_ldexp_f32 v28, v31, v34
	s_delay_alu instid0(VALU_DEP_1) | instskip(NEXT) | instid1(VALU_DEP_1)
	v_dual_mul_f32 v31, 0.5, v29 :: v_dual_cndmask_b32 v28, 0, v28, s0
	v_trunc_f32_e32 v34, v31
	v_cmp_nlt_f32_e64 s0, 0x42b17218, v33
	s_delay_alu instid0(VALU_DEP_2) | instskip(NEXT) | instid1(VALU_DEP_2)
	v_cmp_neq_f32_e64 s1, v34, v31
	v_cndmask_b32_e64 v28, 0x7f800000, v28, s0
	v_cmp_eq_f32_e64 s0, v30, v29
	v_cndmask_b32_e64 v30, 0x7f800000, 0, s19
	s_and_b32 s0, s0, s1
	v_add_f32_e32 v27, v32, v27
	v_cmp_class_f32_e64 s1, v28, 0x204
	s_delay_alu instid0(VALU_DEP_2) | instskip(NEXT) | instid1(VALU_DEP_1)
	v_dual_cndmask_b32 v31, 1.0, v26, s0 :: v_dual_fma_f32 v27, v28, v27, v28
	v_cndmask_b32_e64 v27, v27, v28, s1
	s_xor_b32 s1, vcc_lo, s2
	s_delay_alu instid0(SALU_CYCLE_1) | instskip(SKIP_1) | instid1(VALU_DEP_3)
	v_cndmask_b32_e64 v28, 0x7f800000, 0, s1
	v_cmp_neq_f32_e64 s1, |v26|, 1.0
	v_bfi_b32 v27, 0x7fffffff, v27, v31
	v_cndmask_b32_e64 v31, 0, v26, s0
	v_cmp_class_f32_e64 s0, v29, 0x204
	s_delay_alu instid0(VALU_DEP_4) | instskip(SKIP_1) | instid1(VALU_DEP_4)
	v_cndmask_b32_e64 v30, 1.0, v30, s1
	v_cmp_class_f32_e64 s1, v26, 0x204
	v_bfi_b32 v28, 0x7fffffff, v28, v31
	s_delay_alu instid0(VALU_DEP_3) | instskip(SKIP_1) | instid1(VALU_DEP_1)
	v_cndmask_b32_e64 v27, v27, v30, s0
	s_or_b32 vcc_lo, vcc_lo, s1
	v_cndmask_b32_e32 v27, v27, v28, vcc_lo
	v_cmp_o_f32_e32 vcc_lo, v26, v29
	s_delay_alu instid0(VALU_DEP_2)
	v_cndmask_b32_e32 v26, 0x7fc00000, v27, vcc_lo
.LBB1_28:                               ;   in Loop: Header=BB1_29 Depth=1
	v_cvt_f32_u32_e32 v25, v25
	v_cvt_f32_u32_e32 v11, v11
	v_add_nc_u64_e32 v[0:1], v[0:1], v[8:9]
	s_delay_alu instid0(VALU_DEP_3) | instskip(SKIP_2) | instid1(VALU_DEP_2)
	v_dual_add_nc_u32 v24, 32, v24 :: v_dual_add_f32 v28, 1.0, v25
	v_sub_f32_e32 v27, v25, v17
	v_cmp_gt_f32_e32 vcc_lo, v17, v25
	v_dual_sub_f32 v29, v18, v28 :: v_dual_add_f32 v27, 1.0, v27
	s_delay_alu instid0(VALU_DEP_1) | instskip(NEXT) | instid1(VALU_DEP_1)
	v_dual_add_f32 v29, 1.0, v29 :: v_dual_mul_f32 v27, v27, v26
	v_cndmask_b32_e32 v25, v26, v27, vcc_lo
	v_subrev_f32_e32 v26, s3, v11
	v_cmp_gt_f32_e32 vcc_lo, v28, v18
	s_delay_alu instid0(VALU_DEP_2) | instskip(NEXT) | instid1(VALU_DEP_1)
	v_dual_add_f32 v26, 1.0, v26 :: v_dual_mul_f32 v27, v29, v25
	v_cndmask_b32_e32 v25, v25, v27, vcc_lo
	v_add_f32_e32 v29, 1.0, v11
	v_cmp_gt_f32_e32 vcc_lo, s3, v11
	s_delay_alu instid0(VALU_DEP_3) | instskip(NEXT) | instid1(VALU_DEP_1)
	v_mul_f32_e32 v26, v26, v25
	v_dual_sub_f32 v27, s5, v29 :: v_dual_cndmask_b32 v11, v25, v26, vcc_lo
	s_delay_alu instid0(VALU_DEP_1) | instskip(SKIP_1) | instid1(VALU_DEP_2)
	v_add_f32_e32 v27, 1.0, v27
	v_cmp_lt_f32_e32 vcc_lo, s5, v29
	v_mul_f32_e32 v25, v27, v11
	s_delay_alu instid0(VALU_DEP_1) | instskip(SKIP_1) | instid1(VALU_DEP_2)
	v_dual_cndmask_b32 v26, v11, v25 :: v_dual_mov_b32 v11, v13
	v_cmp_ge_u32_e32 vcc_lo, v24, v21
	v_mul_f32_e32 v27, v26, v12
	s_or_b32 s9, vcc_lo, s9
	s_delay_alu instid0(VALU_DEP_1)
	v_pk_fma_f32 v[4:5], v[26:27], v[10:11], v[4:5] op_sel_hi:[0,1,1]
	v_pk_add_f32 v[6:7], v[6:7], v[26:27]
	s_and_not1_b32 exec_lo, exec_lo, s9
	s_cbranch_execz .LBB1_31
.LBB1_29:                               ; =>This Inner Loop Header: Depth=1
	s_delay_alu instid0(VALU_DEP_2) | instskip(SKIP_1) | instid1(VALU_DEP_2)
	v_mad_u32 v10, v22, v1, v24
	v_dual_add_nc_u32 v11, 1, v1 :: v_dual_add_nc_u32 v13, v19, v24
	v_add_nc_u32_e32 v12, v10, v23
	v_cmp_ge_u32_e32 vcc_lo, v10, v20
	s_delay_alu instid0(VALU_DEP_2) | instskip(NEXT) | instid1(VALU_DEP_1)
	v_dual_cndmask_b32 v11, v1, v11 :: v_dual_cndmask_b32 v10, v10, v12
	v_add_nc_u32_e32 v12, 1, v11
	s_delay_alu instid0(VALU_DEP_2) | instskip(NEXT) | instid1(VALU_DEP_2)
	v_cmp_ge_u32_e32 vcc_lo, v10, v20
	v_cndmask_b32_e32 v10, v11, v12, vcc_lo
	s_delay_alu instid0(VALU_DEP_1) | instskip(SKIP_1) | instid1(VALU_DEP_1)
	v_mad_u32 v25, v22, v10, v13
	v_add_nc_u32_e32 v11, s7, v10
	v_mad_u32 v10, v11, s6, v25
	s_delay_alu instid0(VALU_DEP_1)
	v_mad_nc_u64_u32 v[12:13], v10, 3, s[14:15]
	s_clause 0x1
	global_load_u16 v10, v[12:13], off
	global_load_u8 v28, v[12:13], off offset:2
	s_wait_loadcnt 0x1
	s_wait_xcnt 0x0
	v_cvt_f32_ubyte1_e32 v13, v10
	v_cvt_f32_ubyte0_e32 v12, v10
	s_wait_loadcnt 0x0
	v_cvt_f32_ubyte0_e32 v10, v28
	s_delay_alu instid0(VALU_DEP_2) | instskip(NEXT) | instid1(VALU_DEP_2)
	v_pk_add_f32 v[26:27], v[2:3], v[12:13] neg_lo:[0,1] neg_hi:[0,1]
	v_sub_f32_e32 v28, v15, v10
	s_delay_alu instid0(VALU_DEP_2) | instskip(NEXT) | instid1(VALU_DEP_1)
	v_pk_mul_f32 v[26:27], v[26:27], v[26:27]
	v_add_f32_e32 v26, v26, v27
	s_delay_alu instid0(VALU_DEP_1) | instskip(NEXT) | instid1(VALU_DEP_1)
	v_fmac_f32_e32 v26, v28, v28
	v_mul_f32_e32 v27, 0x4f800000, v26
	v_cmp_gt_f32_e32 vcc_lo, 0xf800000, v26
	s_delay_alu instid0(VALU_DEP_2) | instskip(NEXT) | instid1(VALU_DEP_1)
	v_cndmask_b32_e32 v26, v26, v27, vcc_lo
	v_sqrt_f32_e32 v27, v26
	v_nop
	s_delay_alu instid0(TRANS32_DEP_1) | instskip(NEXT) | instid1(VALU_DEP_1)
	v_dual_add_nc_u32 v28, -1, v27 :: v_dual_add_nc_u32 v29, 1, v27
	v_dual_fma_f32 v30, -v28, v27, v26 :: v_dual_fma_f32 v31, -v29, v27, v26
	s_delay_alu instid0(VALU_DEP_1) | instskip(NEXT) | instid1(VALU_DEP_1)
	v_cmp_ge_f32_e64 s0, 0, v30
	v_cndmask_b32_e64 v27, v27, v28, s0
	s_delay_alu instid0(VALU_DEP_3) | instskip(NEXT) | instid1(VALU_DEP_1)
	v_cmp_lt_f32_e64 s0, 0, v31
	v_cndmask_b32_e64 v27, v27, v29, s0
	s_delay_alu instid0(VALU_DEP_1) | instskip(NEXT) | instid1(VALU_DEP_1)
	v_mul_f32_e32 v28, 0x37800000, v27
	v_cndmask_b32_e32 v27, v27, v28, vcc_lo
	v_cmp_class_f32_e64 vcc_lo, v26, 0x260
	s_delay_alu instid0(VALU_DEP_2) | instskip(NEXT) | instid1(VALU_DEP_1)
	v_cndmask_b32_e32 v26, v27, v26, vcc_lo
	v_div_scale_f32 v27, null, 0x43dcd623, 0x43dcd623, v26
	s_delay_alu instid0(VALU_DEP_1) | instskip(SKIP_1) | instid1(TRANS32_DEP_1)
	v_rcp_f32_e32 v28, v27
	v_nop
	v_fma_f32 v29, -v27, v28, 1.0
	s_delay_alu instid0(VALU_DEP_1) | instskip(SKIP_1) | instid1(VALU_DEP_1)
	v_fmac_f32_e32 v28, v29, v28
	v_div_scale_f32 v29, vcc_lo, v26, 0x43dcd623, v26
	v_mul_f32_e32 v30, v29, v28
	s_delay_alu instid0(VALU_DEP_1) | instskip(NEXT) | instid1(VALU_DEP_1)
	v_fma_f32 v31, -v27, v30, v29
	v_fmac_f32_e32 v30, v31, v28
	s_delay_alu instid0(VALU_DEP_1) | instskip(NEXT) | instid1(VALU_DEP_1)
	v_fma_f32 v27, -v27, v30, v29
	v_div_fmas_f32 v27, v27, v28, v30
	s_and_not1_b32 vcc_lo, exec_lo, s17
	s_delay_alu instid0(VALU_DEP_1)
	v_div_fixup_f32 v26, v27, 0x43dcd623, v26
	s_cbranch_vccz .LBB1_27
; %bb.30:                               ;   in Loop: Header=BB1_29 Depth=1
	s_delay_alu instid0(VALU_DEP_1)
	v_cndmask_b32_e64 v26, v26, 1.0, s16
	s_branch .LBB1_28
.LBB1_31:
	s_or_b32 exec_lo, exec_lo, s9
.LBB1_32:
	s_delay_alu instid0(SALU_CYCLE_1) | instskip(SKIP_1) | instid1(VALU_DEP_1)
	s_or_b32 exec_lo, exec_lo, s8
	v_mbcnt_lo_u32_b32 v8, -1, 0
	v_lshl_or_b32 v9, v8, 2, 64
	v_cmp_lt_u32_e32 vcc_lo, 23, v8
	ds_bpermute_b32 v10, v9, v7
	ds_bpermute_b32 v1, v9, v5
	;; [unrolled: 1-line block ×4, first 2 shown]
	v_cndmask_b32_e64 v11, 8, 0, vcc_lo
	v_cmp_lt_u32_e32 vcc_lo, 27, v8
	s_delay_alu instid0(VALU_DEP_2)
	v_add_lshl_u32 v11, v11, v8, 2
	s_wait_dscnt 0x3
	v_add_f32_e32 v7, v7, v10
	s_wait_dscnt 0x1
	v_pk_add_f32 v[0:1], v[4:5], v[0:1]
	s_wait_dscnt 0x0
	v_add_f32_e32 v6, v6, v9
	ds_bpermute_b32 v9, v11, v7
	ds_bpermute_b32 v5, v11, v1
	ds_bpermute_b32 v4, v11, v0
	ds_bpermute_b32 v10, v11, v6
	v_cndmask_b32_e64 v11, 4, 0, vcc_lo
	v_cmp_lt_u32_e32 vcc_lo, 29, v8
	s_delay_alu instid0(VALU_DEP_2)
	v_add_lshl_u32 v11, v11, v8, 2
	s_wait_dscnt 0x3
	v_add_f32_e32 v7, v7, v9
	s_wait_dscnt 0x1
	v_pk_add_f32 v[0:1], v[0:1], v[4:5]
	s_wait_dscnt 0x0
	v_add_f32_e32 v6, v6, v10
	ds_bpermute_b32 v9, v11, v7
	ds_bpermute_b32 v5, v11, v1
	;; [unrolled: 1-line block ×4, first 2 shown]
	v_cndmask_b32_e64 v11, 2, 0, vcc_lo
	v_cmp_ne_u32_e32 vcc_lo, 31, v8
	s_delay_alu instid0(VALU_DEP_2)
	v_add_lshl_u32 v11, v11, v8, 2
	v_add_co_ci_u32_e64 v8, null, 0, v8, vcc_lo
	v_cmp_eq_u32_e32 vcc_lo, 0, v16
	s_wait_dscnt 0x3
	v_add_f32_e32 v7, v7, v9
	s_wait_dscnt 0x1
	v_pk_add_f32 v[0:1], v[0:1], v[4:5]
	s_wait_dscnt 0x0
	v_add_f32_e32 v6, v6, v10
	ds_bpermute_b32 v9, v11, v7
	ds_bpermute_b32 v5, v11, v1
	;; [unrolled: 1-line block ×4, first 2 shown]
	s_wait_dscnt 0x3
	v_dual_add_f32 v8, v7, v9 :: v_dual_lshlrev_b32 v11, 2, v8
	s_wait_dscnt 0x1
	v_pk_add_f32 v[0:1], v[0:1], v[4:5]
	s_wait_dscnt 0x0
	v_add_f32_e32 v6, v6, v10
	ds_bpermute_b32 v9, v11, v8
	ds_bpermute_b32 v5, v11, v1
	;; [unrolled: 1-line block ×4, first 2 shown]
	s_and_b32 exec_lo, exec_lo, vcc_lo
	s_cbranch_execz .LBB1_38
; %bb.33:
	s_wait_dscnt 0x0
	v_add_f32_e32 v6, v6, v7
                                        ; implicit-def: $vgpr7
	s_mov_b32 s0, exec_lo
	s_delay_alu instid0(VALU_DEP_1)
	v_cmpx_neq_f32_e32 0, v6
	s_xor_b32 s2, exec_lo, s0
	s_cbranch_execz .LBB1_35
; %bb.34:
	v_pk_add_f32 v[0:1], v[0:1], v[4:5]
	v_add_f32_e32 v2, v8, v9
	s_delay_alu instid0(VALU_DEP_2) | instskip(NEXT) | instid1(VALU_DEP_3)
	v_div_scale_f32 v4, null, v6, v6, v0
	v_div_scale_f32 v5, null, v6, v6, v1
	v_div_scale_f32 v11, s0, v0, v6, v0
	s_delay_alu instid0(VALU_DEP_3) | instskip(NEXT) | instid1(VALU_DEP_2)
	v_rcp_f32_e32 v8, v4
	v_rcp_f32_e32 v9, v5
	v_div_scale_f32 v16, s1, v1, v6, v1
	s_delay_alu instid0(TRANS32_DEP_2) | instskip(NEXT) | instid1(TRANS32_DEP_1)
	v_fma_f32 v13, -v4, v8, 1.0
	v_fma_f32 v15, -v5, v9, 1.0
	s_delay_alu instid0(VALU_DEP_2) | instskip(SKIP_2) | instid1(VALU_DEP_4)
	v_fmac_f32_e32 v8, v13, v8
	v_div_scale_f32 v3, null, v6, v6, v2
	v_div_scale_f32 v10, vcc_lo, v2, v6, v2
	v_fmac_f32_e32 v9, v15, v9
	s_delay_alu instid0(VALU_DEP_3) | instskip(SKIP_1) | instid1(TRANS32_DEP_1)
	v_rcp_f32_e32 v7, v3
	v_mul_f32_e32 v13, v11, v8
	v_fma_f32 v12, -v3, v7, 1.0
	s_delay_alu instid0(VALU_DEP_1) | instskip(NEXT) | instid1(VALU_DEP_1)
	v_fmac_f32_e32 v7, v12, v7
	v_dual_mul_f32 v12, v10, v7 :: v_dual_mul_f32 v15, v16, v9
	s_delay_alu instid0(VALU_DEP_1) | instskip(NEXT) | instid1(VALU_DEP_2)
	v_dual_fma_f32 v17, -v3, v12, v10 :: v_dual_fma_f32 v18, -v4, v13, v11
	v_fma_f32 v19, -v5, v15, v16
	s_delay_alu instid0(VALU_DEP_2) | instskip(NEXT) | instid1(VALU_DEP_1)
	v_dual_fmac_f32 v12, v17, v7 :: v_dual_fmac_f32 v13, v18, v8
	v_dual_fma_f32 v3, -v3, v12, v10 :: v_dual_fma_f32 v4, -v4, v13, v11
	s_delay_alu instid0(VALU_DEP_1) | instskip(SKIP_1) | instid1(VALU_DEP_2)
	v_div_fmas_f32 v3, v3, v7, v12
	s_mov_b32 vcc_lo, s0
	v_div_fmas_f32 v4, v4, v8, v13
	s_mov_b32 vcc_lo, s1
	s_delay_alu instid0(VALU_DEP_2) | instskip(NEXT) | instid1(VALU_DEP_2)
	v_div_fixup_f32 v2, v3, v6, v2
	v_div_fixup_f32 v0, v4, v6, v0
	s_delay_alu instid0(VALU_DEP_1) | instskip(NEXT) | instid1(VALU_DEP_1)
	v_cvt_i32_f32_e32 v0, v0
	v_dual_fmac_f32 v15, v19, v9 :: v_dual_lshlrev_b32 v0, 16, v0
	s_delay_alu instid0(VALU_DEP_1) | instskip(NEXT) | instid1(VALU_DEP_1)
	v_fma_f32 v5, -v5, v15, v16
	v_div_fmas_f32 v5, v5, v9, v15
                                        ; implicit-def: $vgpr15
	s_delay_alu instid0(VALU_DEP_1) | instskip(NEXT) | instid1(VALU_DEP_1)
	v_div_fixup_f32 v1, v5, v6, v1
	v_cvt_i32_f32_e32 v1, v1
	s_delay_alu instid0(VALU_DEP_1)
	v_lshl_or_b32 v7, v1, 8, v0
.LBB1_35:
	s_and_not1_saveexec_b32 s0, s2
; %bb.36:
	v_cvt_i32_f32_e32 v0, v15
	v_cvt_i32_f32_e32 v1, v3
	s_delay_alu instid0(VALU_DEP_2) | instskip(NEXT) | instid1(VALU_DEP_1)
	v_lshlrev_b32_e32 v0, 16, v0
	v_lshl_or_b32 v7, v1, 8, v0
; %bb.37:
	s_or_b32 exec_lo, exec_lo, s0
	v_mad_u32 v0, s4, s11, v14
	v_cvt_i32_f32_e32 v2, v2
	s_delay_alu instid0(VALU_DEP_1) | instskip(NEXT) | instid1(VALU_DEP_3)
	v_or_b32_e32 v2, v7, v2
	v_mad_nc_u64_u32 v[0:1], v0, 3, s[12:13]
	s_clause 0x1
	global_store_d16_hi_b8 v[0:1], v7, off offset:2
	global_store_b16 v[0:1], v2, off
.LBB1_38:
	s_endpgm
	.section	.rodata,"a",@progbits
	.p2align	6, 0x0
	.amdhsa_kernel _Z18kernelDownsamplingPK15HIP_vector_typeIhLj3EES2_6ParamsPS0_
		.amdhsa_group_segment_fixed_size 0
		.amdhsa_private_segment_fixed_size 0
		.amdhsa_kernarg_size 56
		.amdhsa_user_sgpr_count 2
		.amdhsa_user_sgpr_dispatch_ptr 0
		.amdhsa_user_sgpr_queue_ptr 0
		.amdhsa_user_sgpr_kernarg_segment_ptr 1
		.amdhsa_user_sgpr_dispatch_id 0
		.amdhsa_user_sgpr_kernarg_preload_length 0
		.amdhsa_user_sgpr_kernarg_preload_offset 0
		.amdhsa_user_sgpr_private_segment_size 0
		.amdhsa_wavefront_size32 1
		.amdhsa_uses_dynamic_stack 0
		.amdhsa_enable_private_segment 0
		.amdhsa_system_sgpr_workgroup_id_x 1
		.amdhsa_system_sgpr_workgroup_id_y 1
		.amdhsa_system_sgpr_workgroup_id_z 0
		.amdhsa_system_sgpr_workgroup_info 0
		.amdhsa_system_vgpr_workitem_id 0
		.amdhsa_next_free_vgpr 44
		.amdhsa_next_free_sgpr 21
		.amdhsa_named_barrier_count 0
		.amdhsa_reserve_vcc 1
		.amdhsa_float_round_mode_32 0
		.amdhsa_float_round_mode_16_64 0
		.amdhsa_float_denorm_mode_32 3
		.amdhsa_float_denorm_mode_16_64 3
		.amdhsa_fp16_overflow 0
		.amdhsa_memory_ordered 1
		.amdhsa_forward_progress 1
		.amdhsa_inst_pref_size 37
		.amdhsa_round_robin_scheduling 0
		.amdhsa_exception_fp_ieee_invalid_op 0
		.amdhsa_exception_fp_denorm_src 0
		.amdhsa_exception_fp_ieee_div_zero 0
		.amdhsa_exception_fp_ieee_overflow 0
		.amdhsa_exception_fp_ieee_underflow 0
		.amdhsa_exception_fp_ieee_inexact 0
		.amdhsa_exception_int_div_zero 0
	.end_amdhsa_kernel
	.text
.Lfunc_end1:
	.size	_Z18kernelDownsamplingPK15HIP_vector_typeIhLj3EES2_6ParamsPS0_, .Lfunc_end1-_Z18kernelDownsamplingPK15HIP_vector_typeIhLj3EES2_6ParamsPS0_
                                        ; -- End function
	.set _Z18kernelDownsamplingPK15HIP_vector_typeIhLj3EES2_6ParamsPS0_.num_vgpr, 44
	.set _Z18kernelDownsamplingPK15HIP_vector_typeIhLj3EES2_6ParamsPS0_.num_agpr, 0
	.set _Z18kernelDownsamplingPK15HIP_vector_typeIhLj3EES2_6ParamsPS0_.numbered_sgpr, 21
	.set _Z18kernelDownsamplingPK15HIP_vector_typeIhLj3EES2_6ParamsPS0_.num_named_barrier, 0
	.set _Z18kernelDownsamplingPK15HIP_vector_typeIhLj3EES2_6ParamsPS0_.private_seg_size, 0
	.set _Z18kernelDownsamplingPK15HIP_vector_typeIhLj3EES2_6ParamsPS0_.uses_vcc, 1
	.set _Z18kernelDownsamplingPK15HIP_vector_typeIhLj3EES2_6ParamsPS0_.uses_flat_scratch, 0
	.set _Z18kernelDownsamplingPK15HIP_vector_typeIhLj3EES2_6ParamsPS0_.has_dyn_sized_stack, 0
	.set _Z18kernelDownsamplingPK15HIP_vector_typeIhLj3EES2_6ParamsPS0_.has_recursion, 0
	.set _Z18kernelDownsamplingPK15HIP_vector_typeIhLj3EES2_6ParamsPS0_.has_indirect_call, 0
	.section	.AMDGPU.csdata,"",@progbits
; Kernel info:
; codeLenInByte = 4616
; TotalNumSgprs: 23
; NumVgprs: 44
; ScratchSize: 0
; MemoryBound: 0
; FloatMode: 240
; IeeeMode: 1
; LDSByteSize: 0 bytes/workgroup (compile time only)
; SGPRBlocks: 0
; VGPRBlocks: 2
; NumSGPRsForWavesPerEU: 23
; NumVGPRsForWavesPerEU: 44
; NamedBarCnt: 0
; Occupancy: 16
; WaveLimiterHint : 0
; COMPUTE_PGM_RSRC2:SCRATCH_EN: 0
; COMPUTE_PGM_RSRC2:USER_SGPR: 2
; COMPUTE_PGM_RSRC2:TRAP_HANDLER: 0
; COMPUTE_PGM_RSRC2:TGID_X_EN: 1
; COMPUTE_PGM_RSRC2:TGID_Y_EN: 1
; COMPUTE_PGM_RSRC2:TGID_Z_EN: 0
; COMPUTE_PGM_RSRC2:TIDIG_COMP_CNT: 0
	.text
	.p2alignl 7, 3214868480
	.fill 96, 4, 3214868480
	.section	.AMDGPU.gpr_maximums,"",@progbits
	.set amdgpu.max_num_vgpr, 0
	.set amdgpu.max_num_agpr, 0
	.set amdgpu.max_num_sgpr, 0
	.text
	.type	__hip_cuid_9913affebfff896a,@object ; @__hip_cuid_9913affebfff896a
	.section	.bss,"aw",@nobits
	.globl	__hip_cuid_9913affebfff896a
__hip_cuid_9913affebfff896a:
	.byte	0                               ; 0x0
	.size	__hip_cuid_9913affebfff896a, 1

	.ident	"AMD clang version 22.0.0git (https://github.com/RadeonOpenCompute/llvm-project roc-7.2.4 26084 f58b06dce1f9c15707c5f808fd002e18c2accf7e)"
	.section	".note.GNU-stack","",@progbits
	.addrsig
	.addrsig_sym __hip_cuid_9913affebfff896a
	.amdgpu_metadata
---
amdhsa.kernels:
  - .args:
      - .actual_access:  read_only
        .address_space:  global
        .offset:         0
        .size:           8
        .value_kind:     global_buffer
      - .actual_access:  write_only
        .address_space:  global
        .offset:         8
        .size:           8
        .value_kind:     global_buffer
      - .offset:         16
        .size:           32
        .value_kind:     by_value
    .group_segment_fixed_size: 0
    .kernarg_segment_align: 8
    .kernarg_segment_size: 48
    .language:       OpenCL C
    .language_version:
      - 2
      - 0
    .max_flat_workgroup_size: 1024
    .name:           _Z14kernelGuidancePK15HIP_vector_typeIhLj3EEPS0_6Params
    .private_segment_fixed_size: 0
    .sgpr_count:     15
    .sgpr_spill_count: 0
    .symbol:         _Z14kernelGuidancePK15HIP_vector_typeIhLj3EEPS0_6Params.kd
    .uniform_work_group_size: 1
    .uses_dynamic_stack: false
    .vgpr_count:     27
    .vgpr_spill_count: 0
    .wavefront_size: 32
  - .args:
      - .actual_access:  read_only
        .address_space:  global
        .offset:         0
        .size:           8
        .value_kind:     global_buffer
      - .actual_access:  read_only
        .address_space:  global
        .offset:         8
        .size:           8
        .value_kind:     global_buffer
      - .offset:         16
        .size:           32
        .value_kind:     by_value
      - .actual_access:  write_only
        .address_space:  global
        .offset:         48
        .size:           8
        .value_kind:     global_buffer
    .group_segment_fixed_size: 0
    .kernarg_segment_align: 8
    .kernarg_segment_size: 56
    .language:       OpenCL C
    .language_version:
      - 2
      - 0
    .max_flat_workgroup_size: 1024
    .name:           _Z18kernelDownsamplingPK15HIP_vector_typeIhLj3EES2_6ParamsPS0_
    .private_segment_fixed_size: 0
    .sgpr_count:     23
    .sgpr_spill_count: 0
    .symbol:         _Z18kernelDownsamplingPK15HIP_vector_typeIhLj3EES2_6ParamsPS0_.kd
    .uniform_work_group_size: 1
    .uses_dynamic_stack: false
    .vgpr_count:     44
    .vgpr_spill_count: 0
    .wavefront_size: 32
amdhsa.target:   amdgcn-amd-amdhsa--gfx1250
amdhsa.version:
  - 1
  - 2
...

	.end_amdgpu_metadata
